;; amdgpu-corpus repo=ROCm/bitsandbytes kind=harvested arch=n/a opt=n/a
	.text
	.amdgcn_target "amdgcn-amd-amdhsa--gfx90a"
	.amdhsa_code_object_version 6
	.protected	_Z27kspmm_coo_very_sparse_naiveI6__halfLi16ELi16EEvPiS1_S1_S1_S1_PS0_PT_S2_Pfiiii ; -- Begin function _Z27kspmm_coo_very_sparse_naiveI6__halfLi16ELi16EEvPiS1_S1_S1_S1_PS0_PT_S2_Pfiiii
	.globl	_Z27kspmm_coo_very_sparse_naiveI6__halfLi16ELi16EEvPiS1_S1_S1_S1_PS0_PT_S2_Pfiiii
	.p2align	8
	.type	_Z27kspmm_coo_very_sparse_naiveI6__halfLi16ELi16EEvPiS1_S1_S1_S1_PS0_PT_S2_Pfiiii,@function
_Z27kspmm_coo_very_sparse_naiveI6__halfLi16ELi16EEvPiS1_S1_S1_S1_PS0_PT_S2_Pfiiii: ; @_Z27kspmm_coo_very_sparse_naiveI6__halfLi16ELi16EEvPiS1_S1_S1_S1_PS0_PT_S2_Pfiiii
; %bb.0:
	s_load_dwordx16 s[36:51], s[4:5], 0x0
	s_add_u32 s0, s0, s9
	s_mov_b32 s9, 0
	s_addc_u32 s1, s1, 0
	s_lshl_b64 s[6:7], s[8:9], 2
	s_waitcnt lgkmcnt(0)
	s_add_u32 s12, s36, s6
	s_addc_u32 s13, s37, s7
	s_add_u32 s6, s38, s6
	s_addc_u32 s7, s39, s7
	s_load_dword s10, s[6:7], 0x0
	s_load_dword s76, s[12:13], 0x0
	s_mov_b32 s6, 0
	s_waitcnt lgkmcnt(0)
	s_cmp_eq_u32 s10, 0
	s_cbranch_scc1 .LBB32_2
; %bb.1:
	s_ashr_i32 s11, s10, 31
	s_lshl_b64 s[6:7], s[10:11], 2
	s_add_u32 s6, s40, s6
	s_addc_u32 s7, s41, s7
	s_add_u32 s6, s6, -4
	s_addc_u32 s7, s7, -1
	s_load_dword s6, s[6:7], 0x0
.LBB32_2:
	s_waitcnt lgkmcnt(0)
	s_ashr_i32 s7, s6, 31
	s_lshl_b64 s[10:11], s[6:7], 2
	s_add_u32 s12, s42, s10
	s_addc_u32 s13, s43, s11
	s_cmp_lt_i32 s76, 1
	s_cselect_b64 s[42:43], -1, 0
	s_cmp_gt_i32 s76, 0
	v_mov_b32_e32 v1, 0
	v_mov_b32_e32 v2, 0
	s_cbranch_scc0 .LBB32_4
; %bb.3:
	s_lshl_b64 s[8:9], s[6:7], 1
	s_add_u32 s8, s46, s8
	s_addc_u32 s9, s47, s9
	v_mov_b32_e32 v2, 0
	global_load_ushort v2, v2, s[8:9]
	s_add_u32 s8, s44, s10
	s_addc_u32 s9, s45, s11
	s_load_dword s9, s[8:9], 0x0
.LBB32_4:
	s_nop 0
	s_load_dword s8, s[12:13], 0x0
	s_waitcnt vmcnt(0)
	buffer_store_short v2, off, s[0:3], 0
	s_waitcnt lgkmcnt(0)
	v_mov_b32_e32 v2, s9
	s_mov_b32 s9, 0
	s_cmp_lt_i32 s76, 2
	s_mov_b32 s12, 0
	buffer_store_dword v2, off, s[0:3], 0 offset:64
	s_cbranch_scc1 .LBB32_6
; %bb.5:
	s_lshl_b64 s[12:13], s[6:7], 1
	s_add_u32 s12, s46, s12
	s_addc_u32 s13, s47, s13
	v_mov_b32_e32 v1, 0
	global_load_ushort v1, v1, s[12:13] offset:2
	s_add_u32 s12, s44, s10
	s_addc_u32 s13, s45, s11
	s_load_dword s12, s[12:13], 0x4
.LBB32_6:
	s_waitcnt vmcnt(0)
	buffer_store_short v1, off, s[0:3], 0 offset:2
	s_waitcnt lgkmcnt(0)
	v_mov_b32_e32 v1, s12
	buffer_store_dword v1, off, s[0:3], 0 offset:68
	s_cmp_lt_i32 s76, 3
	v_mov_b32_e32 v1, 0
	v_mov_b32_e32 v2, 0
	s_cbranch_scc1 .LBB32_8
; %bb.7:
	s_lshl_b64 s[12:13], s[6:7], 1
	s_add_u32 s12, s46, s12
	s_addc_u32 s13, s47, s13
	v_mov_b32_e32 v2, 0
	global_load_ushort v2, v2, s[12:13] offset:4
	s_add_u32 s12, s44, s10
	s_addc_u32 s13, s45, s11
	s_load_dword s9, s[12:13], 0x8
.LBB32_8:
	s_waitcnt vmcnt(0)
	buffer_store_short v2, off, s[0:3], 0 offset:4
	s_waitcnt lgkmcnt(0)
	v_mov_b32_e32 v2, s9
	s_mov_b32 s9, 0
	s_cmp_lt_i32 s76, 4
	s_mov_b32 s12, 0
	buffer_store_dword v2, off, s[0:3], 0 offset:72
	s_cbranch_scc1 .LBB32_10
; %bb.9:
	s_lshl_b64 s[12:13], s[6:7], 1
	s_add_u32 s12, s46, s12
	s_addc_u32 s13, s47, s13
	v_mov_b32_e32 v1, 0
	global_load_ushort v1, v1, s[12:13] offset:6
	s_add_u32 s12, s44, s10
	s_addc_u32 s13, s45, s11
	s_load_dword s12, s[12:13], 0xc
.LBB32_10:
	s_waitcnt vmcnt(0)
	buffer_store_short v1, off, s[0:3], 0 offset:6
	s_waitcnt lgkmcnt(0)
	v_mov_b32_e32 v1, s12
	buffer_store_dword v1, off, s[0:3], 0 offset:76
	s_cmp_lt_i32 s76, 5
	v_mov_b32_e32 v1, 0
	v_mov_b32_e32 v2, 0
	s_cbranch_scc1 .LBB32_12
; %bb.11:
	s_lshl_b64 s[12:13], s[6:7], 1
	s_add_u32 s12, s46, s12
	s_addc_u32 s13, s47, s13
	v_mov_b32_e32 v2, 0
	global_load_ushort v2, v2, s[12:13] offset:8
	s_add_u32 s12, s44, s10
	s_addc_u32 s13, s45, s11
	s_load_dword s9, s[12:13], 0x10
.LBB32_12:
	s_waitcnt vmcnt(0)
	buffer_store_short v2, off, s[0:3], 0 offset:8
	;; [unrolled: 38-line block ×15, first 2 shown]
	s_waitcnt lgkmcnt(0)
	v_mov_b32_e32 v2, s9
	s_cmp_lt_i32 s76, 32
	s_mov_b32 s9, 0
	buffer_store_dword v2, off, s[0:3], 0 offset:184
	s_cbranch_scc1 .LBB32_66
; %bb.65:
	s_lshl_b64 s[6:7], s[6:7], 1
	s_add_u32 s6, s46, s6
	s_addc_u32 s7, s47, s7
	v_mov_b32_e32 v1, 0
	global_load_ushort v1, v1, s[6:7] offset:62
	s_add_u32 s6, s44, s10
	s_addc_u32 s7, s45, s11
	s_load_dword s9, s[6:7], 0x7c
.LBB32_66:
	s_load_dword s62, s[4:5], 0x54
	v_lshlrev_b32_e32 v2, 4, v0
	v_and_b32_e32 v13, 0x3c00, v2
	s_waitcnt vmcnt(0)
	buffer_store_short v1, off, s[0:3], 0 offset:62
	s_waitcnt lgkmcnt(0)
	v_mov_b32_e32 v1, s9
	v_cmp_gt_i32_e32 vcc, s62, v13
	buffer_store_dword v1, off, s[0:3], 0 offset:188
	s_and_saveexec_b64 s[6:7], vcc
	s_cbranch_execz .LBB32_165
; %bb.67:
	s_load_dwordx2 s[6:7], s[4:5], 0x40
                                        ; implicit-def: $vgpr49 : SGPR spill to VGPR lane
	s_mul_i32 s63, s8, s62
	s_load_dword s4, s[4:5], 0x64
	v_add_lshl_u32 v1, v0, v13, 2
	v_and_b32_e32 v18, 0x3f0, v2
	s_waitcnt lgkmcnt(0)
	s_cmp_lg_u64 s[6:7], 0
	s_cselect_b64 s[46:47], -1, 0
	s_and_b32 s64, s4, 0xffff
	s_lshl_b32 s65, s64, 4
	s_add_u32 s4, s50, 2
	v_writelane_b32 v49, s4, 0
	s_addc_u32 s4, s51, 0
	v_writelane_b32 v49, s4, 1
	s_add_u32 s4, s50, 4
	v_writelane_b32 v49, s4, 2
	s_addc_u32 s4, s51, 0
	v_writelane_b32 v49, s4, 3
	s_add_u32 s4, s50, 6
	v_writelane_b32 v49, s4, 4
	s_addc_u32 s4, s51, 0
	v_writelane_b32 v49, s4, 5
	s_add_u32 s4, s50, 8
	v_writelane_b32 v49, s4, 6
	s_addc_u32 s4, s51, 0
	v_writelane_b32 v49, s4, 7
	s_add_u32 s4, s50, 10
	v_writelane_b32 v49, s4, 8
	s_addc_u32 s4, s51, 0
	v_writelane_b32 v49, s4, 9
	s_add_u32 s4, s50, 12
	v_writelane_b32 v49, s4, 10
	s_addc_u32 s4, s51, 0
	v_writelane_b32 v49, s4, 11
	s_add_u32 s4, s50, 14
	v_writelane_b32 v49, s4, 12
	s_addc_u32 s4, s51, 0
	s_add_u32 s80, s48, 16
	s_addc_u32 s81, s49, 0
	s_add_u32 s82, s48, 18
	;; [unrolled: 2-line block ×8, first 2 shown]
	s_addc_u32 s95, s49, 0
	s_ashr_i32 s96, s63, 31
	v_writelane_b32 v49, s4, 13
	s_add_u32 s4, s50, 16
	s_addc_u32 s98, s51, 0
	v_writelane_b32 v49, s4, 14
	s_add_u32 s4, s50, 18
	s_addc_u32 s71, s51, 0
	;; [unrolled: 3-line block ×7, first 2 shown]
	s_add_u32 s75, s50, 30
	v_mov_b32_e32 v2, s7
	v_add_co_u32_e32 v10, vcc, s6, v1
	s_mov_b64 s[44:45], 0
	s_addc_u32 s77, s51, 0
	v_lshlrev_b32_e32 v19, 1, v0
	s_lshl_b32 s79, s64, 1
	v_addc_co_u32_e32 v11, vcc, 0, v2, vcc
	s_mov_b32 s97, 0
	s_lshl_b32 s99, s64, 2
	s_movk_i32 s68, 0x7ff
	s_mov_b32 s72, 0x5040100
	v_mov_b32_e32 v20, v13
	v_writelane_b32 v49, s4, 20
	s_branch .LBB32_69
.LBB32_68:                              ;   in Loop: Header=BB32_69 Depth=1
	s_or_b64 exec, exec, s[4:5]
	v_add_u32_e32 v20, s65, v20
	v_cmp_le_i32_e32 vcc, s62, v20
	s_or_b64 s[44:45], vcc, s[44:45]
	s_andn2_b64 exec, exec, s[44:45]
	s_cbranch_execz .LBB32_165
.LBB32_69:                              ; =>This Loop Header: Depth=1
                                        ;     Child Loop BB32_72 Depth 2
                                        ;     Child Loop BB32_83 Depth 2
	s_andn2_b64 vcc, exec, s[46:47]
	s_cbranch_vccnz .LBB32_75
; %bb.70:                               ;   in Loop: Header=BB32_69 Depth=1
	s_mov_b64 s[4:5], 0
	v_pk_mov_b32 v[2:3], v[10:11], v[10:11] op_sel:[0,1]
	v_mov_b32_e32 v1, v19
	v_mov_b32_e32 v4, v0
	s_branch .LBB32_72
.LBB32_71:                              ;   in Loop: Header=BB32_72 Depth=2
	s_or_b64 exec, exec, s[6:7]
	v_add_u32_e32 v4, s64, v4
	v_cmp_lt_u32_e32 vcc, s68, v4
	v_mov_b32_e32 v5, s97
	s_or_b64 s[4:5], vcc, s[4:5]
	v_add_co_u32_e32 v2, vcc, s99, v2
	v_add_u32_e32 v1, s79, v1
	v_addc_co_u32_e32 v3, vcc, v3, v5, vcc
	s_andn2_b64 exec, exec, s[4:5]
	s_cbranch_execz .LBB32_74
.LBB32_72:                              ;   Parent Loop BB32_69 Depth=1
                                        ; =>  This Inner Loop Header: Depth=2
	v_add_u32_e32 v5, v13, v4
	v_cmp_gt_i32_e32 vcc, s62, v5
	s_and_saveexec_b64 s[6:7], vcc
	s_cbranch_execz .LBB32_71
; %bb.73:                               ;   in Loop: Header=BB32_72 Depth=2
	global_load_dword v5, v[2:3], off
	s_waitcnt vmcnt(0)
	v_cvt_f16_f32_e32 v5, v5
	ds_write_b16 v1, v5
	s_branch .LBB32_71
.LBB32_74:                              ;   in Loop: Header=BB32_69 Depth=1
	s_or_b64 exec, exec, s[4:5]
	s_waitcnt lgkmcnt(0)
	s_barrier
.LBB32_75:                              ;   in Loop: Header=BB32_69 Depth=1
	s_andn2_b64 vcc, exec, s[42:43]
	v_add_u32_e32 v12, v20, v18
	s_cbranch_vccnz .LBB32_77
; %bb.76:                               ;   in Loop: Header=BB32_69 Depth=1
	v_or_b32_e32 v28, 8, v12
	s_mov_b64 s[4:5], 0
	s_mov_b32 s6, 0
	s_branch .LBB32_78
.LBB32_77:                              ;   in Loop: Header=BB32_69 Depth=1
	s_mov_b64 s[4:5], -1
                                        ; implicit-def: $sgpr6
                                        ; implicit-def: $vgpr28
.LBB32_78:                              ;   in Loop: Header=BB32_69 Depth=1
	v_add_u32_e32 v30, 16, v12
	s_andn2_b64 vcc, exec, s[4:5]
	v_mov_b32_e32 v38, s6
	v_cmp_le_i32_e64 s[4:5], s62, v30
	v_mov_b32_e32 v37, s6
	v_mov_b32_e32 v36, s6
	;; [unrolled: 1-line block ×15, first 2 shown]
	s_cbranch_vccnz .LBB32_125
; %bb.79:                               ;   in Loop: Header=BB32_69 Depth=1
	v_or_b32_e32 v1, 1, v12
	v_cmp_gt_i32_e64 s[10:11], s62, v1
	v_or_b32_e32 v1, 2, v12
	v_cmp_gt_i32_e64 s[12:13], s62, v1
	;; [unrolled: 2-line block ×12, first 2 shown]
	v_or_b32_e32 v1, 14, v12
	v_or_b32_e32 v28, 8, v12
	v_cmp_gt_i32_e64 s[36:37], s62, v1
	v_or_b32_e32 v1, 15, v12
	v_cmp_gt_i32_e32 vcc, s62, v12
	v_cmp_gt_i32_e64 s[6:7], s62, v28
	v_cmp_le_i32_e64 s[8:9], s62, v28
	v_cmp_gt_i32_e64 s[38:39], s62, v1
	v_ashrrev_i32_e32 v1, 31, v12
	v_mov_b32_e32 v39, 64
	v_mov_b32_e32 v40, 0
	;; [unrolled: 1-line block ×3, first 2 shown]
	s_mov_b32 s33, s76
	v_mov_b32_e32 v22, 0
	v_mov_b32_e32 v23, 0
	;; [unrolled: 1-line block ×15, first 2 shown]
	s_branch .LBB32_83
.LBB32_80:                              ;   in Loop: Header=BB32_83 Depth=2
	s_or_b64 exec, exec, s[40:41]
	s_waitcnt vmcnt(0)
	v_cvt_f32_f16_e32 v14, v45
	v_fma_mixlo_f16 v29, v6, v14, v29 op_sel_hi:[1,0,1]
	v_fma_mixlo_f16 v27, v46, v14, v27 op_sel_hi:[1,0,1]
	;; [unrolled: 1-line block ×8, first 2 shown]
.LBB32_81:                              ;   in Loop: Header=BB32_83 Depth=2
	s_or_b64 exec, exec, s[54:55]
	s_waitcnt vmcnt(0)
	v_fma_mixlo_f16 v38, v2, v45, v38 op_sel_hi:[1,1,1]
	v_fma_mixlo_f16 v37, v41, v45, v37 op_sel_hi:[1,1,1]
	;; [unrolled: 1-line block ×8, first 2 shown]
.LBB32_82:                              ;   in Loop: Header=BB32_83 Depth=2
	s_or_b64 exec, exec, s[52:53]
	s_add_i32 s33, s33, -1
	v_add_u32_e32 v39, 4, v39
	s_cmp_eq_u32 s33, 0
	v_add_u32_e32 v40, 2, v40
	s_cbranch_scc1 .LBB32_125
.LBB32_83:                              ;   Parent Loop BB32_69 Depth=1
                                        ; =>  This Inner Loop Header: Depth=2
	s_and_saveexec_b64 s[52:53], vcc
	s_cbranch_execz .LBB32_82
; %bb.84:                               ;   in Loop: Header=BB32_83 Depth=2
	buffer_load_dword v2, v39, s[0:3], 0 offen
	s_mov_b64 s[56:57], 0
                                        ; implicit-def: $vgpr41
                                        ; implicit-def: $vgpr42
                                        ; implicit-def: $vgpr43
                                        ; implicit-def: $vgpr6_vgpr7
                                        ; implicit-def: $sgpr58
	s_waitcnt vmcnt(0)
	v_mul_lo_u32 v16, v2, s62
	v_add_u32_e32 v8, v12, v16
                                        ; implicit-def: $vgpr2
	s_and_saveexec_b64 s[40:41], s[8:9]
	s_xor_b64 s[54:55], exec, s[40:41]
	s_cbranch_execz .LBB32_95
; %bb.85:                               ;   in Loop: Header=BB32_83 Depth=2
	v_ashrrev_i32_e32 v9, 31, v8
	v_lshlrev_b64 v[2:3], 1, v[8:9]
	v_mov_b32_e32 v4, s49
	v_add_co_u32_e64 v8, s[40:41], s48, v2
	v_addc_co_u32_e64 v9, s[40:41], v4, v3, s[40:41]
	global_load_ushort v2, v[8:9], off
	v_mov_b32_e32 v3, 0
	v_mov_b32_e32 v41, 0
	s_and_saveexec_b64 s[40:41], s[10:11]
	s_cbranch_execz .LBB32_87
; %bb.86:                               ;   in Loop: Header=BB32_83 Depth=2
	global_load_ushort v41, v[8:9], off offset:2
.LBB32_87:                              ;   in Loop: Header=BB32_83 Depth=2
	s_or_b64 exec, exec, s[40:41]
	s_and_saveexec_b64 s[40:41], s[12:13]
	s_cbranch_execz .LBB32_89
; %bb.88:                               ;   in Loop: Header=BB32_83 Depth=2
	global_load_ushort v3, v[8:9], off offset:4
.LBB32_89:                              ;   in Loop: Header=BB32_83 Depth=2
	s_or_b64 exec, exec, s[40:41]
	v_mov_b32_e32 v4, 0
	v_mov_b32_e32 v42, 0
	s_and_saveexec_b64 s[40:41], s[14:15]
	s_cbranch_execz .LBB32_91
; %bb.90:                               ;   in Loop: Header=BB32_83 Depth=2
	global_load_ushort v42, v[8:9], off offset:6
.LBB32_91:                              ;   in Loop: Header=BB32_83 Depth=2
	s_or_b64 exec, exec, s[40:41]
	s_and_saveexec_b64 s[40:41], s[16:17]
	s_cbranch_execz .LBB32_93
; %bb.92:                               ;   in Loop: Header=BB32_83 Depth=2
	global_load_ushort v4, v[8:9], off offset:8
.LBB32_93:                              ;   in Loop: Header=BB32_83 Depth=2
	s_or_b64 exec, exec, s[40:41]
	v_mov_b32_e32 v5, 0
	v_mov_b32_e32 v43, 0
	s_and_saveexec_b64 s[40:41], s[18:19]
	s_cbranch_execz .LBB32_98
; %bb.94:                               ;   in Loop: Header=BB32_83 Depth=2
	global_load_ushort v43, v[8:9], off offset:10
	s_or_b64 exec, exec, s[40:41]
	s_and_saveexec_b64 s[40:41], s[20:21]
	s_cbranch_execz .LBB32_100
	s_branch .LBB32_99
.LBB32_95:                              ;   in Loop: Header=BB32_83 Depth=2
	s_andn2_saveexec_b64 s[54:55], s[54:55]
	s_cbranch_execz .LBB32_103
.LBB32_96:                              ;   in Loop: Header=BB32_83 Depth=2
	s_waitcnt vmcnt(0)
	v_ashrrev_i32_e32 v2, 31, v8
	v_lshrrev_b32_e32 v2, 29, v2
	v_add_u32_e32 v2, v8, v2
	v_ashrrev_i32_e32 v2, 3, v2
	v_ashrrev_i32_e32 v3, 31, v2
	v_lshlrev_b64 v[2:3], 4, v[2:3]
	v_mov_b32_e32 v4, s49
	v_add_co_u32_e64 v6, s[40:41], s48, v2
	v_addc_co_u32_e64 v7, s[40:41], v4, v3, s[40:41]
	global_load_dwordx4 v[2:5], v[6:7], off
	v_add_co_u32_e64 v6, s[40:41], 14, v6
	v_addc_co_u32_e64 v7, s[40:41], 0, v7, s[40:41]
	s_or_b64 s[56:57], s[56:57], exec
	s_waitcnt vmcnt(0)
	v_lshrrev_b32_e32 v41, 16, v2
	v_lshrrev_b32_e32 v42, 16, v3
	;; [unrolled: 1-line block ×3, first 2 shown]
	s_or_b64 exec, exec, s[54:55]
	v_mov_b32_e32 v44, s58
	s_and_saveexec_b64 s[40:41], s[56:57]
	s_cbranch_execnz .LBB32_104
.LBB32_97:                              ;   in Loop: Header=BB32_83 Depth=2
	s_or_b64 exec, exec, s[40:41]
	buffer_load_ushort v45, v40, s[0:3], 0 offen
	s_and_saveexec_b64 s[54:55], s[6:7]
	s_cbranch_execz .LBB32_81
	s_branch .LBB32_105
.LBB32_98:                              ;   in Loop: Header=BB32_83 Depth=2
	s_or_b64 exec, exec, s[40:41]
	s_and_saveexec_b64 s[40:41], s[20:21]
	s_cbranch_execz .LBB32_100
.LBB32_99:                              ;   in Loop: Header=BB32_83 Depth=2
	global_load_ushort v5, v[8:9], off offset:12
.LBB32_100:                             ;   in Loop: Header=BB32_83 Depth=2
	s_or_b64 exec, exec, s[40:41]
                                        ; implicit-def: $vgpr6_vgpr7
	s_and_saveexec_b64 s[40:41], s[22:23]
	s_xor_b64 s[58:59], exec, s[40:41]
; %bb.101:                              ;   in Loop: Header=BB32_83 Depth=2
	v_add_co_u32_e64 v6, s[40:41], 14, v8
	s_mov_b64 s[56:57], exec
	v_addc_co_u32_e64 v7, s[40:41], 0, v9, s[40:41]
; %bb.102:                              ;   in Loop: Header=BB32_83 Depth=2
	s_or_b64 exec, exec, s[58:59]
	s_mov_b32 s58, 0
	s_and_b64 s[56:57], s[56:57], exec
                                        ; implicit-def: $vgpr8
	s_andn2_saveexec_b64 s[54:55], s[54:55]
	s_cbranch_execnz .LBB32_96
.LBB32_103:                             ;   in Loop: Header=BB32_83 Depth=2
	s_or_b64 exec, exec, s[54:55]
	v_mov_b32_e32 v44, s58
	s_and_saveexec_b64 s[40:41], s[56:57]
	s_cbranch_execz .LBB32_97
.LBB32_104:                             ;   in Loop: Header=BB32_83 Depth=2
	global_load_ushort v44, v[6:7], off
	s_or_b64 exec, exec, s[40:41]
	buffer_load_ushort v45, v40, s[0:3], 0 offen
	s_and_saveexec_b64 s[54:55], s[6:7]
	s_cbranch_execz .LBB32_81
.LBB32_105:                             ;   in Loop: Header=BB32_83 Depth=2
	s_mov_b64 s[58:59], 0
                                        ; implicit-def: $vgpr6
                                        ; implicit-def: $vgpr46
                                        ; implicit-def: $vgpr47
                                        ; implicit-def: $vgpr48
                                        ; implicit-def: $vgpr14_vgpr15
                                        ; implicit-def: $sgpr60
	s_and_saveexec_b64 s[40:41], s[4:5]
	s_xor_b64 s[56:57], exec, s[40:41]
	s_cbranch_execz .LBB32_116
; %bb.106:                              ;   in Loop: Header=BB32_83 Depth=2
	v_ashrrev_i32_e32 v7, 31, v16
	v_add_co_u32_e64 v6, s[40:41], v12, v16
	v_addc_co_u32_e64 v7, s[40:41], v1, v7, s[40:41]
	v_lshlrev_b64 v[16:17], 1, v[6:7]
	v_mov_b32_e32 v7, s81
	v_add_co_u32_e64 v6, s[40:41], s80, v16
	v_addc_co_u32_e64 v7, s[40:41], v7, v17, s[40:41]
	global_load_ushort v6, v[6:7], off
	v_mov_b32_e32 v7, 0
	v_mov_b32_e32 v46, 0
	s_and_saveexec_b64 s[58:59], s[24:25]
	s_cbranch_execz .LBB32_108
; %bb.107:                              ;   in Loop: Header=BB32_83 Depth=2
	v_mov_b32_e32 v9, s83
	v_add_co_u32_e64 v8, s[40:41], s82, v16
	v_addc_co_u32_e64 v9, s[40:41], v9, v17, s[40:41]
	global_load_ushort v46, v[8:9], off
.LBB32_108:                             ;   in Loop: Header=BB32_83 Depth=2
	s_or_b64 exec, exec, s[58:59]
	s_and_saveexec_b64 s[58:59], s[26:27]
	s_cbranch_execz .LBB32_110
; %bb.109:                              ;   in Loop: Header=BB32_83 Depth=2
	v_mov_b32_e32 v7, s85
	v_add_co_u32_e64 v8, s[40:41], s84, v16
	v_addc_co_u32_e64 v9, s[40:41], v7, v17, s[40:41]
	global_load_ushort v7, v[8:9], off
.LBB32_110:                             ;   in Loop: Header=BB32_83 Depth=2
	s_or_b64 exec, exec, s[58:59]
	v_mov_b32_e32 v8, 0
	v_mov_b32_e32 v47, 0
	s_and_saveexec_b64 s[58:59], s[28:29]
	s_cbranch_execz .LBB32_112
; %bb.111:                              ;   in Loop: Header=BB32_83 Depth=2
	v_mov_b32_e32 v9, s87
	v_add_co_u32_e64 v14, s[40:41], s86, v16
	v_addc_co_u32_e64 v15, s[40:41], v9, v17, s[40:41]
	global_load_ushort v47, v[14:15], off
.LBB32_112:                             ;   in Loop: Header=BB32_83 Depth=2
	s_or_b64 exec, exec, s[58:59]
	s_and_saveexec_b64 s[58:59], s[30:31]
	s_cbranch_execz .LBB32_114
; %bb.113:                              ;   in Loop: Header=BB32_83 Depth=2
	v_mov_b32_e32 v9, s89
	v_add_co_u32_e64 v8, s[40:41], s88, v16
	v_addc_co_u32_e64 v9, s[40:41], v9, v17, s[40:41]
	global_load_ushort v8, v[8:9], off
.LBB32_114:                             ;   in Loop: Header=BB32_83 Depth=2
	s_or_b64 exec, exec, s[58:59]
	v_mov_b32_e32 v9, 0
	v_mov_b32_e32 v48, 0
	s_and_saveexec_b64 s[58:59], s[34:35]
	s_cbranch_execz .LBB32_118
; %bb.115:                              ;   in Loop: Header=BB32_83 Depth=2
	v_mov_b32_e32 v15, s91
	v_add_co_u32_e64 v14, s[40:41], s90, v16
	v_addc_co_u32_e64 v15, s[40:41], v15, v17, s[40:41]
	global_load_ushort v48, v[14:15], off
	s_or_b64 exec, exec, s[58:59]
	s_and_saveexec_b64 s[58:59], s[36:37]
	s_cbranch_execz .LBB32_120
	s_branch .LBB32_119
.LBB32_116:                             ;   in Loop: Header=BB32_83 Depth=2
	s_andn2_saveexec_b64 s[56:57], s[56:57]
	s_cbranch_execz .LBB32_123
.LBB32_117:                             ;   in Loop: Header=BB32_83 Depth=2
	s_waitcnt vmcnt(0)
	v_add_u32_e32 v6, v28, v16
	v_ashrrev_i32_e32 v7, 31, v6
	v_lshrrev_b32_e32 v7, 29, v7
	v_add_u32_e32 v6, v6, v7
	v_ashrrev_i32_e32 v6, 3, v6
	v_ashrrev_i32_e32 v7, 31, v6
	v_lshlrev_b64 v[6:7], 4, v[6:7]
	v_mov_b32_e32 v8, s49
	v_add_co_u32_e64 v14, s[40:41], s48, v6
	v_addc_co_u32_e64 v15, s[40:41], v8, v7, s[40:41]
	global_load_dwordx4 v[6:9], v[14:15], off
	v_add_co_u32_e64 v14, s[40:41], 14, v14
	v_addc_co_u32_e64 v15, s[40:41], 0, v15, s[40:41]
	s_or_b64 s[58:59], s[58:59], exec
	s_waitcnt vmcnt(0)
	v_lshrrev_b32_e32 v46, 16, v6
	v_lshrrev_b32_e32 v47, 16, v7
	;; [unrolled: 1-line block ×3, first 2 shown]
	s_or_b64 exec, exec, s[56:57]
	v_mov_b32_e32 v16, s60
	s_and_saveexec_b64 s[40:41], s[58:59]
	s_cbranch_execz .LBB32_80
	s_branch .LBB32_124
.LBB32_118:                             ;   in Loop: Header=BB32_83 Depth=2
	s_or_b64 exec, exec, s[58:59]
	s_and_saveexec_b64 s[58:59], s[36:37]
	s_cbranch_execz .LBB32_120
.LBB32_119:                             ;   in Loop: Header=BB32_83 Depth=2
	v_mov_b32_e32 v9, s93
	v_add_co_u32_e64 v14, s[40:41], s92, v16
	v_addc_co_u32_e64 v15, s[40:41], v9, v17, s[40:41]
	global_load_ushort v9, v[14:15], off
.LBB32_120:                             ;   in Loop: Header=BB32_83 Depth=2
	s_or_b64 exec, exec, s[58:59]
	s_mov_b64 s[58:59], 0
                                        ; implicit-def: $vgpr14_vgpr15
	s_and_saveexec_b64 s[60:61], s[38:39]
; %bb.121:                              ;   in Loop: Header=BB32_83 Depth=2
	v_mov_b32_e32 v15, s95
	v_add_co_u32_e64 v14, s[40:41], s94, v16
	s_mov_b64 s[58:59], exec
	v_addc_co_u32_e64 v15, s[40:41], v15, v17, s[40:41]
; %bb.122:                              ;   in Loop: Header=BB32_83 Depth=2
	s_or_b64 exec, exec, s[60:61]
	s_mov_b32 s60, 0
	s_and_b64 s[58:59], s[58:59], exec
                                        ; implicit-def: $vgpr16
	s_andn2_saveexec_b64 s[56:57], s[56:57]
	s_cbranch_execnz .LBB32_117
.LBB32_123:                             ;   in Loop: Header=BB32_83 Depth=2
	s_or_b64 exec, exec, s[56:57]
	v_mov_b32_e32 v16, s60
	s_and_saveexec_b64 s[40:41], s[58:59]
	s_cbranch_execz .LBB32_80
.LBB32_124:                             ;   in Loop: Header=BB32_83 Depth=2
	global_load_ushort v16, v[14:15], off
	s_branch .LBB32_80
.LBB32_125:                             ;   in Loop: Header=BB32_69 Depth=1
	v_add_u32_e32 v2, s63, v12
	v_cmp_gt_i32_e32 vcc, s62, v28
	v_cmp_le_i32_e64 s[4:5], s62, v28
	s_and_saveexec_b64 s[6:7], s[4:5]
	s_xor_b64 s[6:7], exec, s[6:7]
	s_cbranch_execz .LBB32_143
; %bb.126:                              ;   in Loop: Header=BB32_69 Depth=1
	v_cmp_gt_i32_e64 s[4:5], s62, v12
	s_and_saveexec_b64 s[8:9], s[4:5]
	s_cbranch_execz .LBB32_128
; %bb.127:                              ;   in Loop: Header=BB32_69 Depth=1
	v_ashrrev_i32_e32 v3, 31, v2
	v_lshlrev_b64 v[4:5], 1, v[2:3]
	v_mov_b32_e32 v1, s51
	v_add_co_u32_e64 v4, s[4:5], s50, v4
	v_addc_co_u32_e64 v5, s[4:5], v1, v5, s[4:5]
	global_load_ushort v1, v[4:5], off
	s_waitcnt vmcnt(0)
	v_add_f16_e32 v1, v1, v38
	global_store_short v[4:5], v1, off
.LBB32_128:                             ;   in Loop: Header=BB32_69 Depth=1
	s_or_b64 exec, exec, s[8:9]
	v_or_b32_e32 v1, 1, v12
	v_cmp_gt_i32_e64 s[4:5], s62, v1
	s_and_saveexec_b64 s[8:9], s[4:5]
	s_cbranch_execz .LBB32_130
; %bb.129:                              ;   in Loop: Header=BB32_69 Depth=1
	v_ashrrev_i32_e32 v3, 31, v2
	v_readlane_b32 s4, v49, 1
	v_lshlrev_b64 v[4:5], 1, v[2:3]
	v_mov_b32_e32 v1, s4
	v_readlane_b32 s4, v49, 0
	v_add_co_u32_e64 v4, s[4:5], s4, v4
	v_addc_co_u32_e64 v5, s[4:5], v1, v5, s[4:5]
	global_load_ushort v1, v[4:5], off
	s_waitcnt vmcnt(0)
	v_add_f16_e32 v1, v1, v37
	global_store_short v[4:5], v1, off
.LBB32_130:                             ;   in Loop: Header=BB32_69 Depth=1
	s_or_b64 exec, exec, s[8:9]
	v_or_b32_e32 v1, 2, v12
	v_cmp_gt_i32_e64 s[4:5], s62, v1
	s_and_saveexec_b64 s[8:9], s[4:5]
	s_cbranch_execz .LBB32_132
; %bb.131:                              ;   in Loop: Header=BB32_69 Depth=1
	v_ashrrev_i32_e32 v3, 31, v2
	v_readlane_b32 s4, v49, 3
	v_lshlrev_b64 v[4:5], 1, v[2:3]
	v_mov_b32_e32 v1, s4
	v_readlane_b32 s4, v49, 2
	v_add_co_u32_e64 v4, s[4:5], s4, v4
	v_addc_co_u32_e64 v5, s[4:5], v1, v5, s[4:5]
	global_load_ushort v1, v[4:5], off
	s_waitcnt vmcnt(0)
	v_add_f16_e32 v1, v1, v36
	global_store_short v[4:5], v1, off
.LBB32_132:                             ;   in Loop: Header=BB32_69 Depth=1
	;; [unrolled: 18-line block ×7, first 2 shown]
	s_or_b64 exec, exec, s[8:9]
                                        ; implicit-def: $vgpr2
                                        ; implicit-def: $vgpr38
                                        ; implicit-def: $vgpr37
                                        ; implicit-def: $vgpr36
                                        ; implicit-def: $vgpr35
                                        ; implicit-def: $vgpr34
                                        ; implicit-def: $vgpr33
                                        ; implicit-def: $vgpr32
                                        ; implicit-def: $vgpr31
.LBB32_143:                             ;   in Loop: Header=BB32_69 Depth=1
	s_andn2_saveexec_b64 s[6:7], s[6:7]
	s_cbranch_execz .LBB32_145
; %bb.144:                              ;   in Loop: Header=BB32_69 Depth=1
	v_ashrrev_i32_e32 v1, 31, v2
	v_lshrrev_b32_e32 v1, 29, v1
	v_add_u32_e32 v1, v2, v1
	v_ashrrev_i32_e32 v2, 3, v1
	v_ashrrev_i32_e32 v3, 31, v2
	v_lshlrev_b64 v[2:3], 4, v[2:3]
	v_mov_b32_e32 v1, s51
	v_add_co_u32_e64 v6, s[4:5], s50, v2
	v_addc_co_u32_e64 v7, s[4:5], v1, v3, s[4:5]
	global_load_dwordx4 v[2:5], v[6:7], off
	s_waitcnt vmcnt(0)
	v_add_f16_e32 v1, v38, v2
	v_add_f16_sdwa v2, v37, v2 dst_sel:DWORD dst_unused:UNUSED_PAD src0_sel:DWORD src1_sel:WORD_1
	v_add_f16_e32 v8, v36, v3
	v_add_f16_sdwa v3, v35, v3 dst_sel:DWORD dst_unused:UNUSED_PAD src0_sel:DWORD src1_sel:WORD_1
	;; [unrolled: 2-line block ×4, first 2 shown]
	v_pack_b32_f16 v5, v14, v5
	v_pack_b32_f16 v4, v9, v4
	;; [unrolled: 1-line block ×4, first 2 shown]
	global_store_dwordx4 v[6:7], v[2:5], off
.LBB32_145:                             ;   in Loop: Header=BB32_69 Depth=1
	s_or_b64 exec, exec, s[6:7]
	v_cmp_le_i32_e64 s[4:5], s62, v30
	s_and_saveexec_b64 s[6:7], s[4:5]
	s_xor_b64 s[4:5], exec, s[6:7]
	s_cbranch_execz .LBB32_163
; %bb.146:                              ;   in Loop: Header=BB32_69 Depth=1
	s_and_saveexec_b64 s[6:7], vcc
	s_cbranch_execz .LBB32_148
; %bb.147:                              ;   in Loop: Header=BB32_69 Depth=1
	v_ashrrev_i32_e32 v1, 31, v12
	v_mov_b32_e32 v3, s96
	v_add_co_u32_e32 v2, vcc, s63, v12
	v_addc_co_u32_e32 v3, vcc, v1, v3, vcc
	v_lshlrev_b64 v[2:3], 1, v[2:3]
	v_readlane_b32 s8, v49, 14
	v_mov_b32_e32 v1, s98
	v_add_co_u32_e32 v2, vcc, s8, v2
	v_addc_co_u32_e32 v3, vcc, v1, v3, vcc
	global_load_ushort v1, v[2:3], off
	s_waitcnt vmcnt(0)
	v_add_f16_e32 v1, v1, v29
	global_store_short v[2:3], v1, off
.LBB32_148:                             ;   in Loop: Header=BB32_69 Depth=1
	s_or_b64 exec, exec, s[6:7]
	v_or_b32_e32 v1, 9, v12
	v_cmp_gt_i32_e32 vcc, s62, v1
	s_and_saveexec_b64 s[6:7], vcc
	s_cbranch_execz .LBB32_150
; %bb.149:                              ;   in Loop: Header=BB32_69 Depth=1
	v_ashrrev_i32_e32 v1, 31, v12
	v_mov_b32_e32 v3, s96
	v_add_co_u32_e32 v2, vcc, s63, v12
	v_addc_co_u32_e32 v3, vcc, v1, v3, vcc
	v_lshlrev_b64 v[2:3], 1, v[2:3]
	v_readlane_b32 s8, v49, 15
	v_mov_b32_e32 v1, s71
	v_add_co_u32_e32 v2, vcc, s8, v2
	v_addc_co_u32_e32 v3, vcc, v1, v3, vcc
	global_load_ushort v1, v[2:3], off
	s_waitcnt vmcnt(0)
	v_add_f16_e32 v1, v1, v27
	global_store_short v[2:3], v1, off
.LBB32_150:                             ;   in Loop: Header=BB32_69 Depth=1
	s_or_b64 exec, exec, s[6:7]
	v_or_b32_e32 v1, 10, v12
	v_cmp_gt_i32_e32 vcc, s62, v1
	;; [unrolled: 20-line block ×7, first 2 shown]
	s_and_saveexec_b64 s[6:7], vcc
	s_cbranch_execz .LBB32_162
; %bb.161:                              ;   in Loop: Header=BB32_69 Depth=1
	v_ashrrev_i32_e32 v1, 31, v12
	v_mov_b32_e32 v3, s96
	v_add_co_u32_e32 v2, vcc, s63, v12
	v_addc_co_u32_e32 v3, vcc, v1, v3, vcc
	v_lshlrev_b64 v[2:3], 1, v[2:3]
	v_mov_b32_e32 v1, s77
	v_add_co_u32_e32 v2, vcc, s75, v2
	v_addc_co_u32_e32 v3, vcc, v1, v3, vcc
	global_load_ushort v1, v[2:3], off
	s_waitcnt vmcnt(0)
	v_add_f16_e32 v1, v1, v21
	global_store_short v[2:3], v1, off
.LBB32_162:                             ;   in Loop: Header=BB32_69 Depth=1
	s_or_b64 exec, exec, s[6:7]
                                        ; implicit-def: $vgpr29
                                        ; implicit-def: $vgpr27
                                        ; implicit-def: $vgpr26
                                        ; implicit-def: $vgpr25
                                        ; implicit-def: $vgpr24
                                        ; implicit-def: $vgpr23
                                        ; implicit-def: $vgpr22
                                        ; implicit-def: $vgpr21
                                        ; implicit-def: $vgpr28
.LBB32_163:                             ;   in Loop: Header=BB32_69 Depth=1
	s_andn2_saveexec_b64 s[4:5], s[4:5]
	s_cbranch_execz .LBB32_68
; %bb.164:                              ;   in Loop: Header=BB32_69 Depth=1
	v_add_u32_e32 v1, s63, v28
	v_ashrrev_i32_e32 v2, 31, v1
	v_lshrrev_b32_e32 v2, 29, v2
	v_add_u32_e32 v1, v1, v2
	v_ashrrev_i32_e32 v2, 3, v1
	v_ashrrev_i32_e32 v3, 31, v2
	v_lshlrev_b64 v[2:3], 4, v[2:3]
	v_mov_b32_e32 v1, s51
	v_add_co_u32_e32 v6, vcc, s50, v2
	v_addc_co_u32_e32 v7, vcc, v1, v3, vcc
	global_load_ushort v1, v[6:7], off offset:14
	v_perm_b32 v5, v21, v22, s72
	v_perm_b32 v4, v23, v24, s72
	;; [unrolled: 1-line block ×3, first 2 shown]
	s_waitcnt vmcnt(0)
	v_add_f16_e32 v1, v29, v1
	v_perm_b32 v2, v27, v1, s72
	global_store_dwordx4 v[6:7], v[2:5], off
	s_branch .LBB32_68
.LBB32_165:
	s_endpgm
	.section	.rodata,"a",@progbits
	.p2align	6, 0x0
	.amdhsa_kernel _Z27kspmm_coo_very_sparse_naiveI6__halfLi16ELi16EEvPiS1_S1_S1_S1_PS0_PT_S2_Pfiiii
		.amdhsa_group_segment_fixed_size 4096
		.amdhsa_private_segment_fixed_size 208
		.amdhsa_kernarg_size 344
		.amdhsa_user_sgpr_count 8
		.amdhsa_user_sgpr_private_segment_buffer 1
		.amdhsa_user_sgpr_dispatch_ptr 0
		.amdhsa_user_sgpr_queue_ptr 0
		.amdhsa_user_sgpr_kernarg_segment_ptr 1
		.amdhsa_user_sgpr_dispatch_id 0
		.amdhsa_user_sgpr_flat_scratch_init 1
		.amdhsa_user_sgpr_kernarg_preload_length 0
		.amdhsa_user_sgpr_kernarg_preload_offset 0
		.amdhsa_user_sgpr_private_segment_size 0
		.amdhsa_uses_dynamic_stack 0
		.amdhsa_system_sgpr_private_segment_wavefront_offset 1
		.amdhsa_system_sgpr_workgroup_id_x 1
		.amdhsa_system_sgpr_workgroup_id_y 0
		.amdhsa_system_sgpr_workgroup_id_z 0
		.amdhsa_system_sgpr_workgroup_info 0
		.amdhsa_system_vgpr_workitem_id 0
		.amdhsa_next_free_vgpr 50
		.amdhsa_next_free_sgpr 100
		.amdhsa_accum_offset 52
		.amdhsa_reserve_vcc 1
		.amdhsa_reserve_flat_scratch 0
		.amdhsa_float_round_mode_32 0
		.amdhsa_float_round_mode_16_64 0
		.amdhsa_float_denorm_mode_32 3
		.amdhsa_float_denorm_mode_16_64 3
		.amdhsa_dx10_clamp 1
		.amdhsa_ieee_mode 1
		.amdhsa_fp16_overflow 0
		.amdhsa_tg_split 0
		.amdhsa_exception_fp_ieee_invalid_op 0
		.amdhsa_exception_fp_denorm_src 0
		.amdhsa_exception_fp_ieee_div_zero 0
		.amdhsa_exception_fp_ieee_overflow 0
		.amdhsa_exception_fp_ieee_underflow 0
		.amdhsa_exception_fp_ieee_inexact 0
		.amdhsa_exception_int_div_zero 0
	.end_amdhsa_kernel
	.section	.text._Z27kspmm_coo_very_sparse_naiveI6__halfLi16ELi16EEvPiS1_S1_S1_S1_PS0_PT_S2_Pfiiii,"axG",@progbits,_Z27kspmm_coo_very_sparse_naiveI6__halfLi16ELi16EEvPiS1_S1_S1_S1_PS0_PT_S2_Pfiiii,comdat
.Lfunc_end32:
	.size	_Z27kspmm_coo_very_sparse_naiveI6__halfLi16ELi16EEvPiS1_S1_S1_S1_PS0_PT_S2_Pfiiii, .Lfunc_end32-_Z27kspmm_coo_very_sparse_naiveI6__halfLi16ELi16EEvPiS1_S1_S1_S1_PS0_PT_S2_Pfiiii
                                        ; -- End function
	.section	.AMDGPU.csdata,"",@progbits
; Kernel info:
; codeLenInByte = 6852
; NumSgprs: 104
; NumVgprs: 50
; NumAgprs: 0
; TotalNumVgprs: 50
; ScratchSize: 208
; MemoryBound: 0
; FloatMode: 240
; IeeeMode: 1
; LDSByteSize: 4096 bytes/workgroup (compile time only)
; SGPRBlocks: 12
; VGPRBlocks: 6
; NumSGPRsForWavesPerEU: 104
; NumVGPRsForWavesPerEU: 50
; AccumOffset: 52
; Occupancy: 7
; WaveLimiterHint : 1
; COMPUTE_PGM_RSRC2:SCRATCH_EN: 1
; COMPUTE_PGM_RSRC2:USER_SGPR: 8
; COMPUTE_PGM_RSRC2:TRAP_HANDLER: 0
; COMPUTE_PGM_RSRC2:TGID_X_EN: 1
; COMPUTE_PGM_RSRC2:TGID_Y_EN: 0
; COMPUTE_PGM_RSRC2:TGID_Z_EN: 0
; COMPUTE_PGM_RSRC2:TIDIG_COMP_CNT: 0
; COMPUTE_PGM_RSRC3_GFX90A:ACCUM_OFFSET: 12
; COMPUTE_PGM_RSRC3_GFX90A:TG_SPLIT: 0
	.section	.text._Z27kspmm_coo_very_sparse_naiveI6__halfLi32ELi16EEvPiS1_S1_S1_S1_PS0_PT_S2_Pfiiii,"axG",@progbits,_Z27kspmm_coo_very_sparse_naiveI6__halfLi32ELi16EEvPiS1_S1_S1_S1_PS0_PT_S2_Pfiiii,comdat
